;; amdgpu-corpus repo=ROCm/rocFFT kind=compiled arch=gfx906 opt=O3
	.text
	.amdgcn_target "amdgcn-amd-amdhsa--gfx906"
	.amdhsa_code_object_version 6
	.protected	fft_rtc_back_len1105_factors_17_13_5_wgs_255_tpt_85_halfLds_half_op_CI_CI_unitstride_sbrr_dirReg ; -- Begin function fft_rtc_back_len1105_factors_17_13_5_wgs_255_tpt_85_halfLds_half_op_CI_CI_unitstride_sbrr_dirReg
	.globl	fft_rtc_back_len1105_factors_17_13_5_wgs_255_tpt_85_halfLds_half_op_CI_CI_unitstride_sbrr_dirReg
	.p2align	8
	.type	fft_rtc_back_len1105_factors_17_13_5_wgs_255_tpt_85_halfLds_half_op_CI_CI_unitstride_sbrr_dirReg,@function
fft_rtc_back_len1105_factors_17_13_5_wgs_255_tpt_85_halfLds_half_op_CI_CI_unitstride_sbrr_dirReg: ; @fft_rtc_back_len1105_factors_17_13_5_wgs_255_tpt_85_halfLds_half_op_CI_CI_unitstride_sbrr_dirReg
; %bb.0:
	s_load_dwordx4 s[12:15], s[4:5], 0x58
	s_load_dwordx4 s[8:11], s[4:5], 0x0
	;; [unrolled: 1-line block ×3, first 2 shown]
	v_mul_u32_u24_e32 v1, 0x304, v0
	v_lshrrev_b32_e32 v1, 16, v1
	v_mad_u64_u32 v[1:2], s[0:1], s6, 3, v[1:2]
	v_mov_b32_e32 v5, 0
	v_mov_b32_e32 v3, 0
	;; [unrolled: 1-line block ×3, first 2 shown]
	s_waitcnt lgkmcnt(0)
	v_cmp_lt_u64_e64 s[0:1], s[10:11], 2
	v_mov_b32_e32 v4, 0
	v_mov_b32_e32 v8, v4
	;; [unrolled: 1-line block ×3, first 2 shown]
	s_and_b64 vcc, exec, s[0:1]
	v_mov_b32_e32 v7, v3
	v_mov_b32_e32 v11, v1
	s_cbranch_vccnz .LBB0_8
; %bb.1:
	s_load_dwordx2 s[0:1], s[4:5], 0x10
	s_add_u32 s2, s18, 8
	s_addc_u32 s3, s19, 0
	s_add_u32 s6, s16, 8
	v_mov_b32_e32 v3, 0
	s_addc_u32 s7, s17, 0
	v_mov_b32_e32 v4, 0
	s_waitcnt lgkmcnt(0)
	s_add_u32 s20, s0, 8
	v_mov_b32_e32 v8, v4
	v_mov_b32_e32 v10, v2
	s_addc_u32 s21, s1, 0
	s_mov_b64 s[22:23], 1
	v_mov_b32_e32 v7, v3
	v_mov_b32_e32 v9, v1
.LBB0_2:                                ; =>This Inner Loop Header: Depth=1
	s_load_dwordx2 s[24:25], s[20:21], 0x0
                                        ; implicit-def: $vgpr11_vgpr12
	s_waitcnt lgkmcnt(0)
	v_or_b32_e32 v6, s25, v10
	v_cmp_ne_u64_e32 vcc, 0, v[5:6]
	s_and_saveexec_b64 s[0:1], vcc
	s_xor_b64 s[26:27], exec, s[0:1]
	s_cbranch_execz .LBB0_4
; %bb.3:                                ;   in Loop: Header=BB0_2 Depth=1
	v_cvt_f32_u32_e32 v2, s24
	v_cvt_f32_u32_e32 v6, s25
	s_sub_u32 s0, 0, s24
	s_subb_u32 s1, 0, s25
	v_mac_f32_e32 v2, 0x4f800000, v6
	v_rcp_f32_e32 v2, v2
	v_mul_f32_e32 v2, 0x5f7ffffc, v2
	v_mul_f32_e32 v6, 0x2f800000, v2
	v_trunc_f32_e32 v6, v6
	v_mac_f32_e32 v2, 0xcf800000, v6
	v_cvt_u32_f32_e32 v6, v6
	v_cvt_u32_f32_e32 v2, v2
	v_mul_lo_u32 v11, s0, v6
	v_mul_hi_u32 v12, s0, v2
	v_mul_lo_u32 v14, s1, v2
	v_mul_lo_u32 v13, s0, v2
	v_add_u32_e32 v11, v12, v11
	v_add_u32_e32 v11, v11, v14
	v_mul_hi_u32 v12, v2, v13
	v_mul_lo_u32 v14, v2, v11
	v_mul_hi_u32 v16, v2, v11
	v_mul_hi_u32 v15, v6, v13
	v_mul_lo_u32 v13, v6, v13
	v_mul_hi_u32 v17, v6, v11
	v_add_co_u32_e32 v12, vcc, v12, v14
	v_addc_co_u32_e32 v14, vcc, 0, v16, vcc
	v_mul_lo_u32 v11, v6, v11
	v_add_co_u32_e32 v12, vcc, v12, v13
	v_addc_co_u32_e32 v12, vcc, v14, v15, vcc
	v_addc_co_u32_e32 v13, vcc, 0, v17, vcc
	v_add_co_u32_e32 v11, vcc, v12, v11
	v_addc_co_u32_e32 v12, vcc, 0, v13, vcc
	v_add_co_u32_e32 v2, vcc, v2, v11
	v_addc_co_u32_e32 v6, vcc, v6, v12, vcc
	v_mul_lo_u32 v11, s0, v6
	v_mul_hi_u32 v12, s0, v2
	v_mul_lo_u32 v13, s1, v2
	v_mul_lo_u32 v14, s0, v2
	v_add_u32_e32 v11, v12, v11
	v_add_u32_e32 v11, v11, v13
	v_mul_lo_u32 v15, v2, v11
	v_mul_hi_u32 v16, v2, v14
	v_mul_hi_u32 v17, v2, v11
	;; [unrolled: 1-line block ×3, first 2 shown]
	v_mul_lo_u32 v14, v6, v14
	v_mul_hi_u32 v12, v6, v11
	v_add_co_u32_e32 v15, vcc, v16, v15
	v_addc_co_u32_e32 v16, vcc, 0, v17, vcc
	v_mul_lo_u32 v11, v6, v11
	v_add_co_u32_e32 v14, vcc, v15, v14
	v_addc_co_u32_e32 v13, vcc, v16, v13, vcc
	v_addc_co_u32_e32 v12, vcc, 0, v12, vcc
	v_add_co_u32_e32 v11, vcc, v13, v11
	v_addc_co_u32_e32 v12, vcc, 0, v12, vcc
	v_add_co_u32_e32 v2, vcc, v2, v11
	v_addc_co_u32_e32 v6, vcc, v6, v12, vcc
	v_mad_u64_u32 v[11:12], s[0:1], v9, v6, 0
	v_mul_hi_u32 v13, v9, v2
	v_add_co_u32_e32 v15, vcc, v13, v11
	v_addc_co_u32_e32 v16, vcc, 0, v12, vcc
	v_mad_u64_u32 v[11:12], s[0:1], v10, v2, 0
	v_mad_u64_u32 v[13:14], s[0:1], v10, v6, 0
	v_add_co_u32_e32 v2, vcc, v15, v11
	v_addc_co_u32_e32 v2, vcc, v16, v12, vcc
	v_addc_co_u32_e32 v6, vcc, 0, v14, vcc
	v_add_co_u32_e32 v2, vcc, v2, v13
	v_addc_co_u32_e32 v6, vcc, 0, v6, vcc
	v_mul_lo_u32 v13, s25, v2
	v_mul_lo_u32 v14, s24, v6
	v_mad_u64_u32 v[11:12], s[0:1], s24, v2, 0
	v_add3_u32 v12, v12, v14, v13
	v_sub_u32_e32 v13, v10, v12
	v_mov_b32_e32 v14, s25
	v_sub_co_u32_e32 v11, vcc, v9, v11
	v_subb_co_u32_e64 v13, s[0:1], v13, v14, vcc
	v_subrev_co_u32_e64 v14, s[0:1], s24, v11
	v_subbrev_co_u32_e64 v13, s[0:1], 0, v13, s[0:1]
	v_cmp_le_u32_e64 s[0:1], s25, v13
	v_cndmask_b32_e64 v15, 0, -1, s[0:1]
	v_cmp_le_u32_e64 s[0:1], s24, v14
	v_cndmask_b32_e64 v14, 0, -1, s[0:1]
	v_cmp_eq_u32_e64 s[0:1], s25, v13
	v_cndmask_b32_e64 v13, v15, v14, s[0:1]
	v_add_co_u32_e64 v14, s[0:1], 2, v2
	v_addc_co_u32_e64 v15, s[0:1], 0, v6, s[0:1]
	v_add_co_u32_e64 v16, s[0:1], 1, v2
	v_addc_co_u32_e64 v17, s[0:1], 0, v6, s[0:1]
	v_subb_co_u32_e32 v12, vcc, v10, v12, vcc
	v_cmp_ne_u32_e64 s[0:1], 0, v13
	v_cmp_le_u32_e32 vcc, s25, v12
	v_cndmask_b32_e64 v13, v17, v15, s[0:1]
	v_cndmask_b32_e64 v15, 0, -1, vcc
	v_cmp_le_u32_e32 vcc, s24, v11
	v_cndmask_b32_e64 v11, 0, -1, vcc
	v_cmp_eq_u32_e32 vcc, s25, v12
	v_cndmask_b32_e32 v11, v15, v11, vcc
	v_cmp_ne_u32_e32 vcc, 0, v11
	v_cndmask_b32_e32 v12, v6, v13, vcc
	v_cndmask_b32_e64 v6, v16, v14, s[0:1]
	v_cndmask_b32_e32 v11, v2, v6, vcc
.LBB0_4:                                ;   in Loop: Header=BB0_2 Depth=1
	s_andn2_saveexec_b64 s[0:1], s[26:27]
	s_cbranch_execz .LBB0_6
; %bb.5:                                ;   in Loop: Header=BB0_2 Depth=1
	v_cvt_f32_u32_e32 v2, s24
	s_sub_i32 s26, 0, s24
	v_rcp_iflag_f32_e32 v2, v2
	v_mul_f32_e32 v2, 0x4f7ffffe, v2
	v_cvt_u32_f32_e32 v2, v2
	v_mul_lo_u32 v6, s26, v2
	v_mul_hi_u32 v6, v2, v6
	v_add_u32_e32 v2, v2, v6
	v_mul_hi_u32 v2, v9, v2
	v_mul_lo_u32 v6, v2, s24
	v_add_u32_e32 v11, 1, v2
	v_sub_u32_e32 v6, v9, v6
	v_subrev_u32_e32 v12, s24, v6
	v_cmp_le_u32_e32 vcc, s24, v6
	v_cndmask_b32_e32 v6, v6, v12, vcc
	v_cndmask_b32_e32 v2, v2, v11, vcc
	v_add_u32_e32 v11, 1, v2
	v_cmp_le_u32_e32 vcc, s24, v6
	v_cndmask_b32_e32 v11, v2, v11, vcc
	v_mov_b32_e32 v12, v5
.LBB0_6:                                ;   in Loop: Header=BB0_2 Depth=1
	s_or_b64 exec, exec, s[0:1]
	v_mul_lo_u32 v2, v12, s24
	v_mul_lo_u32 v6, v11, s25
	v_mad_u64_u32 v[13:14], s[0:1], v11, s24, 0
	s_load_dwordx2 s[0:1], s[6:7], 0x0
	s_load_dwordx2 s[24:25], s[2:3], 0x0
	v_add3_u32 v2, v14, v6, v2
	v_sub_co_u32_e32 v6, vcc, v9, v13
	v_subb_co_u32_e32 v2, vcc, v10, v2, vcc
	s_waitcnt lgkmcnt(0)
	v_mul_lo_u32 v9, s0, v2
	v_mul_lo_u32 v10, s1, v6
	v_mad_u64_u32 v[3:4], s[0:1], s0, v6, v[3:4]
	s_add_u32 s22, s22, 1
	s_addc_u32 s23, s23, 0
	s_add_u32 s2, s2, 8
	v_mul_lo_u32 v2, s24, v2
	v_mul_lo_u32 v13, s25, v6
	v_mad_u64_u32 v[7:8], s[0:1], s24, v6, v[7:8]
	v_add3_u32 v4, v10, v4, v9
	s_addc_u32 s3, s3, 0
	v_mov_b32_e32 v9, s10
	s_add_u32 s6, s6, 8
	v_mov_b32_e32 v10, s11
	s_addc_u32 s7, s7, 0
	v_cmp_ge_u64_e32 vcc, s[22:23], v[9:10]
	s_add_u32 s20, s20, 8
	v_add3_u32 v8, v13, v8, v2
	s_addc_u32 s21, s21, 0
	s_cbranch_vccnz .LBB0_8
; %bb.7:                                ;   in Loop: Header=BB0_2 Depth=1
	v_mov_b32_e32 v9, v11
	v_mov_b32_e32 v10, v12
	s_branch .LBB0_2
.LBB0_8:
	s_mov_b32 s2, 0x3030304
	s_load_dwordx2 s[0:1], s[4:5], 0x28
	v_mul_hi_u32 v2, v0, s2
	s_lshl_b64 s[10:11], s[10:11], 3
	s_movk_i32 s2, 0x41
	s_add_u32 s4, s18, s10
	v_mul_u32_u24_e32 v2, 0x55, v2
	s_waitcnt lgkmcnt(0)
	v_cmp_gt_u64_e64 s[0:1], s[0:1], v[11:12]
	v_sub_u32_e32 v9, v0, v2
	v_cmp_gt_u32_e64 s[2:3], s2, v9
	s_addc_u32 s5, s19, s11
	s_and_b64 s[18:19], s[0:1], s[2:3]
	v_mov_b32_e32 v6, 0
	v_mov_b32_e32 v0, 0
                                        ; implicit-def: $vgpr13
                                        ; implicit-def: $vgpr5
                                        ; implicit-def: $vgpr14
                                        ; implicit-def: $vgpr20
                                        ; implicit-def: $vgpr15
                                        ; implicit-def: $vgpr30
                                        ; implicit-def: $vgpr16
                                        ; implicit-def: $vgpr31
                                        ; implicit-def: $vgpr17
                                        ; implicit-def: $vgpr32
                                        ; implicit-def: $vgpr18
                                        ; implicit-def: $vgpr33
                                        ; implicit-def: $vgpr19
                                        ; implicit-def: $vgpr34
                                        ; implicit-def: $vgpr21
                                        ; implicit-def: $vgpr35
                                        ; implicit-def: $vgpr22
                                        ; implicit-def: $vgpr43
                                        ; implicit-def: $vgpr23
                                        ; implicit-def: $vgpr42
                                        ; implicit-def: $vgpr24
                                        ; implicit-def: $vgpr41
                                        ; implicit-def: $vgpr25
                                        ; implicit-def: $vgpr40
                                        ; implicit-def: $vgpr26
                                        ; implicit-def: $vgpr39
                                        ; implicit-def: $vgpr27
                                        ; implicit-def: $vgpr38
                                        ; implicit-def: $vgpr28
                                        ; implicit-def: $vgpr37
                                        ; implicit-def: $vgpr29
                                        ; implicit-def: $vgpr36
	s_and_saveexec_b64 s[6:7], s[18:19]
	s_cbranch_execz .LBB0_10
; %bb.9:
	s_add_u32 s10, s16, s10
	s_addc_u32 s11, s17, s11
	s_load_dwordx2 s[10:11], s[10:11], 0x0
	v_mov_b32_e32 v13, s13
	v_mov_b32_e32 v10, 0
	s_waitcnt lgkmcnt(0)
	v_mul_lo_u32 v0, s11, v11
	v_mul_lo_u32 v2, s10, v12
	v_mad_u64_u32 v[5:6], s[10:11], s10, v11, 0
	v_add3_u32 v6, v6, v2, v0
	v_lshlrev_b64 v[5:6], 2, v[5:6]
	v_lshlrev_b64 v[2:3], 2, v[3:4]
	v_add_co_u32_e32 v0, vcc, s12, v5
	v_addc_co_u32_e32 v5, vcc, v13, v6, vcc
	v_add_co_u32_e32 v0, vcc, v0, v2
	v_addc_co_u32_e32 v4, vcc, v5, v3, vcc
	v_lshlrev_b64 v[2:3], 2, v[9:10]
	v_add_co_u32_e32 v2, vcc, v0, v2
	v_addc_co_u32_e32 v3, vcc, v4, v3, vcc
	global_load_dword v0, v[2:3], off
	global_load_dword v5, v[2:3], off offset:260
	global_load_dword v20, v[2:3], off offset:520
	;; [unrolled: 1-line block ×15, first 2 shown]
	v_add_co_u32_e32 v2, vcc, 0x1000, v2
	v_addc_co_u32_e32 v3, vcc, 0, v3, vcc
	global_load_dword v43, v[2:3], off offset:64
	s_waitcnt vmcnt(16)
	v_lshrrev_b32_e32 v6, 16, v0
	s_waitcnt vmcnt(15)
	v_lshrrev_b32_e32 v13, 16, v5
	;; [unrolled: 2-line block ×17, first 2 shown]
.LBB0_10:
	s_or_b64 exec, exec, s[6:7]
	s_mov_b32 s6, 0xaaaaaaab
	v_mul_hi_u32 v2, v1, s6
	v_sub_f16_e32 v51, v13, v22
	s_mov_b32 s21, 0xbb29bbf7
	v_add_f16_e32 v50, v5, v43
	v_lshrrev_b32_e32 v2, 1, v2
	v_lshl_add_u32 v2, v2, 1, v2
	v_sub_u32_e32 v2, v1, v2
	s_mov_b32 s10, 0x37222de8
	v_pk_mul_f16 v1, v51, s21 op_sel_hi:[0,1]
	v_sub_f16_e32 v54, v14, v23
	v_pk_fma_f16 v3, v50, s10, v1 op_sel_hi:[0,1,1] neg_lo:[0,0,1] neg_hi:[0,0,1]
	s_mov_b32 s22, 0xba62b1e1
	v_add_f16_e32 v49, v20, v42
	v_pk_add_f16 v4, v0, v3 op_sel_hi:[0,1]
	s_mov_b32 s11, 0xb8d2bbdd
	v_pk_mul_f16 v3, v54, s22 op_sel_hi:[0,1]
	v_sub_f16_e32 v53, v15, v24
	v_pk_fma_f16 v10, v49, s11, v3 op_sel_hi:[0,1,1] neg_lo:[0,0,1] neg_hi:[0,0,1]
	s_mov_b32 s23, 0x31e13bb2
	v_add_f16_e32 v52, v30, v41
	v_pk_add_f16 v10, v4, v10
	s_mov_b32 s12, 0xbbddb461
	v_pk_mul_f16 v4, v53, s23 op_sel_hi:[0,1]
	v_pk_fma_f16 v44, v52, s12, v4 op_sel_hi:[0,1,1] neg_lo:[0,0,1] neg_hi:[0,0,1]
	s_mov_b32 s24, 0x3bb235c8
	v_sub_f16_e32 v56, v16, v25
	v_pk_add_f16 v10, v10, v44
	s_mov_b32 s13, 0xb4613b76
	v_add_f16_e32 v55, v31, v40
	v_pk_mul_f16 v44, v56, s24 op_sel_hi:[0,1]
	v_pk_fma_f16 v45, v55, s13, v44 op_sel_hi:[0,1,1] neg_lo:[0,0,1] neg_hi:[0,0,1]
	s_mov_b32 s25, 0x3964bb29
	v_sub_f16_e32 v58, v17, v26
	v_pk_add_f16 v10, v10, v45
	s_mov_b32 s16, 0x39e93722
	v_add_f16_e32 v57, v32, v39
	;; [unrolled: 7-line block ×4, first 2 shown]
	v_pk_mul_f16 v47, v62, s27 op_sel_hi:[0,1]
	v_pk_fma_f16 v48, v61, s18, v47 op_sel_hi:[0,1,1] neg_lo:[0,0,1] neg_hi:[0,0,1]
	s_mov_b32 s28, 0xb8363964
	v_sub_f16_e32 v64, v21, v29
	v_pk_add_f16 v65, v10, v48
	v_mul_u32_u24_e32 v2, 0x451, v2
	s_mov_b32 s19, 0xbacd39e9
	v_add_f16_e32 v63, v35, v36
	v_pk_mul_f16 v48, v64, s28 op_sel_hi:[0,1]
	v_lshlrev_b32_e32 v10, 1, v2
	v_pk_fma_f16 v2, v63, s19, v48 op_sel_hi:[0,1,1] neg_lo:[0,0,1] neg_hi:[0,0,1]
	s_mov_b32 s20, 0x5040100
	v_pk_add_f16 v2, v65, v2
	s_and_saveexec_b64 s[6:7], s[2:3]
	s_cbranch_execz .LBB0_12
; %bb.11:
	v_perm_b32 v66, v0, v0, s20
	v_add_f16_e32 v0, v0, v5
	v_add_f16_e32 v0, v0, v20
	;; [unrolled: 1-line block ×14, first 2 shown]
	v_pack_b32_f16 v51, v51, v51
	s_mov_b32 s40, 0xb964b5c8
	v_add_f16_e32 v0, v42, v0
	v_mul_u32_u24_e32 v88, 34, v9
	v_pack_b32_f16 v65, v50, v50
	v_pack_b32_f16 v54, v54, v54
	s_mov_b32 s39, 0x39e93b76
	v_pk_mul_f16 v81, v51, s40
	s_mov_b32 s41, 0xbbf7b964
	v_add_f16_e32 v0, v43, v0
	v_add3_u32 v88, 0, v88, v10
	v_pack_b32_f16 v67, v49, v49
	v_pack_b32_f16 v53, v53, v53
	s_mov_b32 s40, 0x2de839e9
	v_pk_mul_f16 v82, v54, s41
	s_mov_b32 s42, 0xba62bb29
	ds_write_b16 v88, v0
	v_pk_fma_f16 v0, v65, s39, v81
	v_pack_b32_f16 v68, v52, v52
	v_pack_b32_f16 v56, v56, v56
	s_mov_b32 s41, 0xb8d23722
	v_pk_mul_f16 v83, v53, s42
	s_mov_b32 s43, 0xb1e1bbf7
	v_pk_add_f16 v0, v66, v0
	v_pk_fma_f16 v89, v67, s40, v82
	v_pack_b32_f16 v69, v55, v55
	v_pack_b32_f16 v58, v58, v58
	s_mov_b32 s42, 0xbbdd2de8
	v_pk_mul_f16 v84, v56, s43
	s_mov_b32 s44, 0x3836bbb2
	v_pk_add_f16 v0, v0, v89
	;; [unrolled: 7-line block ×4, first 2 shown]
	v_pk_fma_f16 v89, v70, s43, v85
	v_pk_mul_f16 v50, v50, s10 op_sel_hi:[0,1]
	v_pack_b32_f16 v72, v61, v61
	s_mov_b32 s45, 0x3722bacd
	v_pk_mul_f16 v87, v62, s46
	v_pk_add_f16 v0, v0, v89
	v_pk_fma_f16 v89, v71, s44, v86
	v_pk_mul_f16 v49, v49, s11 op_sel_hi:[0,1]
	v_pack_b32_f16 v64, v64, v64
	s_mov_b32 s38, 0x3bf7bbb2
	v_pk_add_f16 v0, v0, v89
	v_pk_fma_f16 v89, v72, s45, v87
	s_mov_b32 s53, 0x3b29ba62
	v_pk_add_f16 v1, v1, v50
	s_mov_b32 s54, 0x35c8b1e1
	v_pk_mul_f16 v52, v52, s12 op_sel_hi:[0,1]
	v_pack_b32_f16 v73, v63, v63
	v_pk_add_f16 v0, v0, v89
	v_pk_mul_f16 v89, v64, s38
	v_pk_mul_f16 v91, v64, s53
	s_mov_b32 s53, 0x3b76bbdd
	v_pk_mul_f16 v64, v64, s54
	v_pk_add_f16 v3, v3, v49
	v_pk_add_f16 v1, v66, v1
	v_pk_mul_f16 v55, v55, s13 op_sel_hi:[0,1]
	v_pk_fma_f16 v49, v73, s53, v64
	v_pk_add_f16 v1, v1, v3
	v_pk_add_f16 v3, v4, v52
	v_pk_mul_f16 v57, v57, s16 op_sel_hi:[0,1]
	v_pk_add_f16 v49, v0, v49
	v_pk_add_f16 v0, v1, v3
	;; [unrolled: 1-line block ×3, first 2 shown]
	v_pk_mul_f16 v59, v59, s17 op_sel_hi:[0,1]
	v_pk_add_f16 v0, v0, v1
	v_pk_add_f16 v1, v45, v57
	v_pk_mul_f16 v61, v61, s18 op_sel_hi:[0,1]
	v_pk_add_f16 v0, v0, v1
	v_pk_add_f16 v1, v46, v59
	;; [unrolled: 3-line block ×3, first 2 shown]
	s_mov_b32 s46, 0xba62bbb2
	v_pk_add_f16 v0, v0, v1
	v_pk_add_f16 v1, v48, v63
	s_mov_b32 s31, 0x35c83b29
	s_mov_b32 s38, 0xb8d2b461
	v_pk_mul_f16 v90, v51, s46
	s_mov_b32 s47, 0x3bb23836
	v_pk_add_f16 v0, v0, v1
	v_pk_mul_f16 v75, v54, s31
	s_mov_b32 s33, 0xb836bbf7
	s_mov_b32 s46, 0xb461bacd
	v_pk_mul_f16 v54, v54, s47
	s_mov_b32 s48, 0xb5c83964
	v_alignbit_b32 v50, v0, v0, 16
	v_pk_fma_f16 v0, v65, s38, v90
	v_pk_mul_f16 v76, v53, s33
	s_mov_b32 s34, 0x39643a62
	s_mov_b32 s47, 0x3b7639e9
	v_pk_mul_f16 v53, v53, s48
	s_mov_b32 s49, 0xb836bb29
	v_pk_add_f16 v0, v66, v0
	v_pk_fma_f16 v1, v67, s46, v54
	v_pk_mul_f16 v77, v56, s34
	s_mov_b32 s35, 0xba62b5c8
	s_mov_b32 s48, 0xbacd3722
	v_pk_mul_f16 v56, v56, s49
	s_mov_b32 s50, 0x3bf7b1e1
	v_pk_add_f16 v0, v0, v1
	;; [unrolled: 7-line block ×4, first 2 shown]
	v_pk_fma_f16 v1, v70, s49, v58
	v_pk_mul_f16 v80, v62, s37
	s_mov_b32 s51, 0xbbdd3b76
	v_pk_mul_f16 v62, v62, s52
	v_pk_add_f16 v0, v0, v1
	v_pk_fma_f16 v1, v71, s50, v60
	s_mov_b32 s30, 0xb1e1b836
	s_mov_b32 s52, 0x3722b8d2
	v_pk_add_f16 v0, v0, v1
	v_pk_fma_f16 v1, v72, s51, v62
	s_mov_b32 s29, 0xbbddbacd
	v_pk_mul_f16 v74, v51, s30
	v_pk_add_f16 v0, v0, v1
	v_pk_fma_f16 v1, v73, s52, v91
	s_mov_b32 s30, 0x3b763722
	v_pk_add_f16 v51, v0, v1
	v_pk_fma_f16 v0, v65, s29, v74
	s_mov_b32 s31, 0xbacd2de8
	;; [unrolled: 3-line block ×7, first 2 shown]
	v_pk_add_f16 v0, v0, v1
	v_pk_fma_f16 v1, v72, s36, v80
	v_pk_add_f16 v0, v0, v1
	v_pk_fma_f16 v1, v73, s37, v89
	v_pk_add_f16 v52, v0, v1
	v_pk_fma_f16 v0, v65, s29, v74 neg_lo:[0,0,1] neg_hi:[0,0,1]
	v_pk_add_f16 v0, v66, v0
	v_pk_fma_f16 v1, v67, s30, v75 neg_lo:[0,0,1] neg_hi:[0,0,1]
	;; [unrolled: 2-line block ×24, first 2 shown]
	v_pk_add_f16 v3, v3, v4
	v_alignbit_b32 v0, v0, v0, 16
	v_alignbit_b32 v1, v1, v1, 16
	v_alignbit_b32 v3, v3, v3, 16
	ds_write_b128 v88, v[49:52] offset:2
	ds_write_b128 v88, v[0:3] offset:18
.LBB0_12:
	s_or_b64 exec, exec, s[6:7]
	v_sub_f16_e32 v64, v5, v43
	v_add_f16_e32 v49, v13, v22
	v_sub_f16_e32 v57, v20, v42
	v_pk_mul_f16 v4, v64, s21 op_sel_hi:[0,1]
	v_add_f16_e32 v50, v14, v23
	v_sub_f16_e32 v58, v30, v41
	v_pk_fma_f16 v0, v49, s10, v4 op_sel_hi:[0,1,1]
	v_pk_mul_f16 v42, v57, s22 op_sel_hi:[0,1]
	v_add_f16_e32 v51, v15, v24
	v_sub_f16_e32 v59, v31, v40
	v_pk_add_f16 v0, v6, v0 op_sel_hi:[0,1]
	v_pk_fma_f16 v1, v50, s11, v42 op_sel_hi:[0,1,1]
	v_pk_mul_f16 v43, v58, s23 op_sel_hi:[0,1]
	v_add_f16_e32 v52, v16, v25
	v_sub_f16_e32 v60, v32, v39
	v_pk_add_f16 v0, v0, v1
	v_pk_fma_f16 v1, v51, s12, v43 op_sel_hi:[0,1,1]
	v_pk_mul_f16 v44, v59, s24 op_sel_hi:[0,1]
	v_add_f16_e32 v53, v17, v26
	v_sub_f16_e32 v61, v33, v38
	v_pk_add_f16 v0, v0, v1
	;; [unrolled: 5-line block ×3, first 2 shown]
	v_pk_fma_f16 v1, v53, s16, v45 op_sel_hi:[0,1,1]
	v_pk_mul_f16 v46, v61, s26 op_sel_hi:[0,1]
	v_add_f16_e32 v55, v19, v28
	v_pk_add_f16 v0, v0, v1
	v_pk_fma_f16 v1, v54, s17, v46 op_sel_hi:[0,1,1]
	v_pk_mul_f16 v47, v62, s27 op_sel_hi:[0,1]
	v_pk_add_f16 v0, v0, v1
	v_pk_fma_f16 v1, v55, s18, v47 op_sel_hi:[0,1,1]
	v_pk_add_f16 v5, v0, v1
	v_lshlrev_b32_e32 v0, 1, v9
	v_add3_u32 v1, 0, v10, v0
	v_add_u32_e32 v3, 0, v0
	v_sub_f16_e32 v63, v35, v36
	s_waitcnt lgkmcnt(0)
	s_barrier
	v_add_u32_e32 v0, v3, v10
	ds_read_u16 v20, v1
	ds_read_u16 v41, v0 offset:170
	ds_read_u16 v40, v0 offset:340
	;; [unrolled: 1-line block ×12, first 2 shown]
	v_add_f16_e32 v56, v21, v29
	v_pk_mul_f16 v48, v63, s28 op_sel_hi:[0,1]
	v_pk_fma_f16 v65, v56, s19, v48 op_sel_hi:[0,1,1]
	v_pk_add_f16 v5, v5, v65
	s_waitcnt lgkmcnt(0)
	s_barrier
	s_and_saveexec_b64 s[6:7], s[2:3]
	s_cbranch_execz .LBB0_14
; %bb.13:
	v_perm_b32 v66, v6, v6, s20
	v_add_f16_e32 v6, v6, v13
	v_add_f16_e32 v6, v6, v14
	v_pack_b32_f16 v64, v64, v64
	v_add_f16_e32 v6, v6, v15
	s_mov_b32 s3, 0xb964b5c8
	v_pack_b32_f16 v65, v49, v49
	v_pack_b32_f16 v57, v57, v57
	v_pk_mul_f16 v49, v49, s10 op_sel_hi:[0,1]
	v_add_f16_e32 v6, v6, v16
	s_mov_b32 s2, 0x39e93b76
	v_pk_mul_f16 v14, v64, s3
	s_mov_b32 s10, 0xbbf7b964
	v_pack_b32_f16 v67, v50, v50
	v_add_f16_e32 v6, v6, v17
	v_pk_fma_f16 v13, v65, s2, v14 neg_lo:[0,0,1] neg_hi:[0,0,1]
	s_mov_b32 s3, 0x2de839e9
	v_pk_mul_f16 v15, v57, s10
	v_pack_b32_f16 v58, v58, v58
	v_pk_mul_f16 v50, v50, s11 op_sel_hi:[0,1]
	v_add_f16_e32 v6, v6, v18
	v_pk_add_f16 v13, v66, v13
	v_pk_fma_f16 v16, v67, s3, v15 neg_lo:[0,0,1] neg_hi:[0,0,1]
	s_mov_b32 s11, 0xba62bb29
	v_pack_b32_f16 v68, v51, v51
	v_add_f16_e32 v6, v6, v19
	v_pk_add_f16 v13, v13, v16
	s_mov_b32 s10, 0xb8d23722
	v_pk_mul_f16 v16, v58, s11
	v_pack_b32_f16 v59, v59, v59
	v_pk_mul_f16 v51, v51, s12 op_sel_hi:[0,1]
	v_add_f16_e32 v6, v6, v21
	v_pk_fma_f16 v17, v68, s10, v16 neg_lo:[0,0,1] neg_hi:[0,0,1]
	s_mov_b32 s12, 0xb1e1bbf7
	v_pack_b32_f16 v69, v52, v52
	v_add_f16_e32 v6, v6, v29
	v_pk_add_f16 v13, v13, v17
	s_mov_b32 s11, 0xbbdd2de8
	v_pk_mul_f16 v17, v59, s12
	v_pack_b32_f16 v60, v60, v60
	v_pk_mul_f16 v52, v52, s13 op_sel_hi:[0,1]
	v_add_f16_e32 v6, v28, v6
	v_pk_fma_f16 v18, v69, s11, v17 neg_lo:[0,0,1] neg_hi:[0,0,1]
	s_mov_b32 s13, 0x3836bbb2
	v_pack_b32_f16 v70, v53, v53
	v_add_f16_e32 v6, v27, v6
	v_pk_add_f16 v13, v13, v18
	s_mov_b32 s12, 0xbacdb461
	v_pk_mul_f16 v18, v60, s13
	v_pk_fma_f16 v14, v65, s2, v14
	v_pack_b32_f16 v61, v61, v61
	v_pk_mul_f16 v53, v53, s16 op_sel_hi:[0,1]
	v_add_f16_e32 v6, v26, v6
	v_pk_fma_f16 v19, v70, s12, v18 neg_lo:[0,0,1] neg_hi:[0,0,1]
	s_mov_b32 s16, 0x3bb2ba62
	v_pk_add_f16 v14, v66, v14
	v_pk_fma_f16 v15, v67, s3, v15
	v_pack_b32_f16 v71, v54, v54
	v_add_f16_e32 v6, v25, v6
	v_pk_add_f16 v13, v13, v19
	s_mov_b32 s13, 0xb461b8d2
	v_pk_mul_f16 v19, v61, s16
	v_pk_add_f16 v14, v14, v15
	v_pk_fma_f16 v15, v68, s10, v16
	v_pack_b32_f16 v62, v62, v62
	v_pk_mul_f16 v54, v54, s17 op_sel_hi:[0,1]
	v_add_f16_e32 v6, v24, v6
	v_pk_fma_f16 v21, v71, s13, v19 neg_lo:[0,0,1] neg_hi:[0,0,1]
	s_mov_b32 s17, 0x3b29b836
	v_pk_add_f16 v14, v14, v15
	v_pk_fma_f16 v15, v69, s11, v17
	v_pack_b32_f16 v72, v55, v55
	v_add_f16_e32 v6, v23, v6
	v_pk_add_f16 v13, v13, v21
	s_mov_b32 s16, 0x3722bacd
	v_pk_mul_f16 v21, v62, s17
	v_pk_add_f16 v14, v14, v15
	v_pk_fma_f16 v15, v70, s12, v18
	v_pack_b32_f16 v63, v63, v63
	v_pk_mul_f16 v55, v55, s18 op_sel_hi:[0,1]
	v_add_f16_e32 v6, v22, v6
	v_pk_fma_f16 v22, v72, s16, v21 neg_lo:[0,0,1] neg_hi:[0,0,1]
	s_mov_b32 s18, 0x35c8b1e1
	v_pk_add_f16 v14, v14, v15
	v_pk_fma_f16 v15, v71, s13, v19
	v_pack_b32_f16 v73, v56, v56
	v_pk_add_f16 v13, v13, v22
	s_mov_b32 s17, 0x3b76bbdd
	v_pk_mul_f16 v22, v63, s18
	v_pk_add_f16 v14, v14, v15
	v_pk_fma_f16 v15, v72, s16, v21
	v_pk_add_f16 v14, v14, v15
	v_pk_fma_f16 v15, v73, s17, v22
	v_pk_add_f16 v4, v49, v4 neg_lo:[0,1] neg_hi:[0,1]
	v_pk_add_f16 v17, v14, v15
	v_pk_add_f16 v4, v66, v4
	v_pk_add_f16 v14, v50, v42 neg_lo:[0,1] neg_hi:[0,1]
	v_pk_add_f16 v4, v4, v14
	v_pk_add_f16 v14, v51, v43 neg_lo:[0,1] neg_hi:[0,1]
	;; [unrolled: 2-line block ×5, first 2 shown]
	v_pk_mul_f16 v56, v56, s19 op_sel_hi:[0,1]
	v_pk_add_f16 v4, v4, v14
	v_pk_add_f16 v14, v55, v47 neg_lo:[0,1] neg_hi:[0,1]
	v_pk_add_f16 v4, v4, v14
	v_pk_add_f16 v14, v56, v48 neg_lo:[0,1] neg_hi:[0,1]
	s_mov_b32 s3, 0xba62bbb2
	v_pk_add_f16 v4, v4, v14
	s_mov_b32 s2, 0xb8d2b461
	v_pk_mul_f16 v14, v64, s3
	s_mov_b32 s10, 0x3bb23836
	v_pk_fma_f16 v15, v65, s2, v14 neg_lo:[0,0,1] neg_hi:[0,0,1]
	s_mov_b32 s3, 0xb461bacd
	v_pk_mul_f16 v16, v57, s10
	v_pk_add_f16 v15, v66, v15
	v_pk_fma_f16 v18, v67, s3, v16 neg_lo:[0,0,1] neg_hi:[0,0,1]
	s_mov_b32 s11, 0xb5c83964
	v_pk_add_f16 v15, v15, v18
	s_mov_b32 s10, 0x3b7639e9
	v_pk_mul_f16 v18, v58, s11
	v_pk_fma_f16 v19, v68, s10, v18 neg_lo:[0,0,1] neg_hi:[0,0,1]
	s_mov_b32 s12, 0xb836bb29
	v_pk_add_f16 v15, v15, v19
	s_mov_b32 s11, 0xbacd3722
	v_pk_mul_f16 v19, v59, s12
	;; [unrolled: 5-line block ×3, first 2 shown]
	v_pk_fma_f16 v14, v65, s2, v14
	v_pk_fma_f16 v23, v73, s17, v22 neg_lo:[0,0,1] neg_hi:[0,0,1]
	v_pk_fma_f16 v22, v70, s12, v21 neg_lo:[0,0,1] neg_hi:[0,0,1]
	s_mov_b32 s16, 0xb9643bf7
	v_pk_add_f16 v14, v66, v14
	v_pk_fma_f16 v16, v67, s3, v16
	v_pk_add_f16 v15, v15, v22
	s_mov_b32 s13, 0x39e92de8
	v_pk_mul_f16 v22, v61, s16
	v_pk_add_f16 v14, v14, v16
	v_pk_fma_f16 v16, v68, s10, v18
	v_pk_add_f16 v13, v13, v23
	v_pk_fma_f16 v23, v71, s13, v22 neg_lo:[0,0,1] neg_hi:[0,0,1]
	s_mov_b32 s17, 0xb1e1b5c8
	v_pk_add_f16 v14, v14, v16
	v_pk_fma_f16 v16, v69, s11, v19
	v_pk_add_f16 v15, v15, v23
	s_mov_b32 s16, 0xbbdd3b76
	v_pk_mul_f16 v23, v62, s17
	v_pk_add_f16 v14, v14, v16
	v_pk_fma_f16 v16, v70, s12, v21
	v_pk_fma_f16 v24, v72, s16, v23 neg_lo:[0,0,1] neg_hi:[0,0,1]
	s_mov_b32 s18, 0x3b29ba62
	v_pk_add_f16 v14, v14, v16
	v_pk_fma_f16 v16, v71, s13, v22
	v_pk_add_f16 v15, v15, v24
	s_mov_b32 s17, 0x3722b8d2
	v_pk_mul_f16 v24, v63, s18
	v_pk_add_f16 v14, v14, v16
	v_pk_fma_f16 v16, v72, s16, v23
	v_pk_add_f16 v14, v14, v16
	v_pk_fma_f16 v16, v73, s17, v24
	s_mov_b32 s3, 0xb1e1b836
	v_pk_add_f16 v18, v14, v16
	s_mov_b32 s2, 0xbbddbacd
	v_pk_mul_f16 v14, v64, s3
	s_mov_b32 s10, 0x35c83b29
	v_pk_fma_f16 v16, v65, s2, v14 neg_lo:[0,0,1] neg_hi:[0,0,1]
	s_mov_b32 s3, 0x3b763722
	v_pk_mul_f16 v19, v57, s10
	v_pk_add_f16 v16, v66, v16
	v_pk_fma_f16 v21, v67, s3, v19 neg_lo:[0,0,1] neg_hi:[0,0,1]
	s_mov_b32 s11, 0xb836bbf7
	v_pk_add_f16 v16, v16, v21
	s_mov_b32 s10, 0xbacd2de8
	v_pk_mul_f16 v21, v58, s11
	v_pk_fma_f16 v22, v68, s10, v21 neg_lo:[0,0,1] neg_hi:[0,0,1]
	s_mov_b32 s12, 0x39643a62
	v_pk_add_f16 v16, v16, v22
	s_mov_b32 s11, 0x39e9b8d2
	v_pk_mul_f16 v22, v59, s12
	;; [unrolled: 5-line block ×3, first 2 shown]
	v_pk_fma_f16 v14, v65, s2, v14
	v_pk_fma_f16 v25, v73, s17, v24 neg_lo:[0,0,1] neg_hi:[0,0,1]
	v_pk_fma_f16 v24, v70, s12, v23 neg_lo:[0,0,1] neg_hi:[0,0,1]
	s_mov_b32 s16, 0x3b29b1e1
	v_pk_add_f16 v14, v66, v14
	v_pk_fma_f16 v19, v67, s3, v19
	v_pk_add_f16 v16, v16, v24
	s_mov_b32 s13, 0x3722bbdd
	v_pk_mul_f16 v24, v61, s16
	v_pk_add_f16 v14, v14, v19
	v_pk_fma_f16 v19, v68, s10, v21
	v_pk_add_f16 v15, v15, v25
	v_pk_fma_f16 v25, v71, s13, v24 neg_lo:[0,0,1] neg_hi:[0,0,1]
	s_mov_b32 s17, 0xbbb23964
	v_pk_add_f16 v14, v14, v19
	v_pk_fma_f16 v19, v69, s11, v22
	v_pk_add_f16 v16, v16, v25
	s_mov_b32 s16, 0xb46139e9
	v_pk_mul_f16 v25, v62, s17
	v_pk_add_f16 v14, v14, v19
	v_pk_fma_f16 v19, v70, s12, v23
	v_pk_fma_f16 v26, v72, s16, v25 neg_lo:[0,0,1] neg_hi:[0,0,1]
	s_mov_b32 s18, 0x3bf7bbb2
	v_pk_add_f16 v14, v14, v19
	v_pk_fma_f16 v19, v71, s13, v24
	v_pk_add_f16 v16, v16, v26
	s_mov_b32 s17, 0x2de8b461
	v_pk_mul_f16 v26, v63, s18
	v_pk_add_f16 v14, v14, v19
	v_pk_fma_f16 v19, v72, s16, v25
	v_pk_add_f16 v14, v14, v19
	v_pk_fma_f16 v19, v73, s17, v26
	v_pk_add_f16 v19, v14, v19
	v_lshlrev_b32_e32 v14, 5, v9
	v_pk_fma_f16 v27, v73, s17, v26 neg_lo:[0,0,1] neg_hi:[0,0,1]
	v_add3_u32 v21, v3, v14, v10
	v_pk_add_f16 v16, v16, v27
	ds_write_b16 v21, v6
	v_alignbit_b32 v14, v4, v4, 16
	v_alignbit_b32 v3, v19, v19, 16
	;; [unrolled: 1-line block ×4, first 2 shown]
	ds_write_b128 v21, v[13:16] offset:2
	ds_write_b128 v21, v[3:6] offset:18
.LBB0_14:
	s_or_b64 exec, exec, s[6:7]
	s_load_dwordx2 s[2:3], s[4:5], 0x0
	s_movk_i32 s4, 0xf1
	v_mul_lo_u16_sdwa v3, v9, s4 dst_sel:DWORD dst_unused:UNUSED_PAD src0_sel:BYTE_0 src1_sel:DWORD
	v_lshrrev_b16_e32 v3, 12, v3
	v_mul_lo_u16_e32 v4, 17, v3
	v_sub_u16_e32 v17, v9, v4
	v_mov_b32_e32 v4, 12
	v_mul_u32_u24_sdwa v4, v17, v4 dst_sel:DWORD dst_unused:UNUSED_PAD src0_sel:BYTE_0 src1_sel:DWORD
	v_lshlrev_b32_e32 v4, 2, v4
	s_waitcnt lgkmcnt(0)
	s_barrier
	global_load_dwordx4 v[13:16], v4, s[8:9]
	global_load_dwordx4 v[46:49], v4, s[8:9] offset:16
	global_load_dwordx4 v[50:53], v4, s[8:9] offset:32
	ds_read_u16 v4, v1
	ds_read_u16 v6, v0 offset:170
	ds_read_u16 v18, v0 offset:340
	;; [unrolled: 1-line block ×12, first 2 shown]
	s_movk_i32 s4, 0x2fb7
	s_mov_b32 s18, 0xbbc4
	s_mov_b32 s5, 0xb5ac
	;; [unrolled: 1-line block ×3, first 2 shown]
	s_movk_i32 s19, 0x3b15
	s_movk_i32 s31, 0x388b
	s_mov_b32 s20, 0x388b3b15
	s_mov_b32 s22, 0xb5ac388b
	;; [unrolled: 1-line block ×10, first 2 shown]
	s_waitcnt vmcnt(0) lgkmcnt(0)
	s_barrier
	s_mov_b32 s6, 0xbbf1
	s_mov_b32 s7, 0xbb7b
	;; [unrolled: 1-line block ×4, first 2 shown]
	s_movk_i32 s12, 0x394e
	s_movk_i32 s11, 0x3bf1
	;; [unrolled: 1-line block ×5, first 2 shown]
	v_cmp_gt_u32_e32 vcc, 51, v9
	v_mul_f16_sdwa v24, v6, v13 dst_sel:DWORD dst_unused:UNUSED_PAD src0_sel:DWORD src1_sel:WORD_1
	v_mul_f16_sdwa v26, v41, v13 dst_sel:DWORD dst_unused:UNUSED_PAD src0_sel:DWORD src1_sel:WORD_1
	;; [unrolled: 1-line block ×3, first 2 shown]
	v_fma_f16 v44, v41, v13, v24
	v_mul_f16_sdwa v58, v19, v15 dst_sel:DWORD dst_unused:UNUSED_PAD src0_sel:DWORD src1_sel:WORD_1
	v_fma_f16 v45, v6, v13, -v26
	v_fma_f16 v42, v40, v14, v27
	v_add_f16_e32 v6, v20, v44
	v_mul_f16_sdwa v28, v40, v14 dst_sel:DWORD dst_unused:UNUSED_PAD src0_sel:DWORD src1_sel:WORD_1
	v_mul_f16_sdwa v60, v21, v16 dst_sel:DWORD dst_unused:UNUSED_PAD src0_sel:DWORD src1_sel:WORD_1
	v_fma_f16 v40, v39, v15, v58
	v_add_f16_e32 v6, v6, v42
	v_mul_f16_sdwa v61, v38, v16 dst_sel:DWORD dst_unused:UNUSED_PAD src0_sel:DWORD src1_sel:WORD_1
	v_mul_f16_sdwa v62, v22, v46 dst_sel:DWORD dst_unused:UNUSED_PAD src0_sel:DWORD src1_sel:WORD_1
	v_fma_f16 v38, v38, v16, v60
	v_add_f16_e32 v6, v6, v40
	v_mul_f16_sdwa v64, v23, v47 dst_sel:DWORD dst_unused:UNUSED_PAD src0_sel:DWORD src1_sel:WORD_1
	v_fma_f16 v26, v37, v46, v62
	v_add_f16_e32 v6, v6, v38
	v_mul_f16_sdwa v66, v25, v48 dst_sel:DWORD dst_unused:UNUSED_PAD src0_sel:DWORD src1_sel:WORD_1
	v_mul_f16_sdwa v77, v30, v53 dst_sel:DWORD dst_unused:UNUSED_PAD src0_sel:DWORD src1_sel:WORD_1
	v_fma_f16 v43, v18, v14, -v28
	v_fma_f16 v14, v36, v47, v64
	v_add_f16_e32 v6, v6, v26
	v_mul_f16_sdwa v59, v39, v15 dst_sel:DWORD dst_unused:UNUSED_PAD src0_sel:DWORD src1_sel:WORD_1
	v_mul_f16_sdwa v63, v37, v46 dst_sel:DWORD dst_unused:UNUSED_PAD src0_sel:DWORD src1_sel:WORD_1
	;; [unrolled: 1-line block ×5, first 2 shown]
	v_fma_f16 v24, v35, v48, v66
	v_fma_f16 v37, v57, v53, -v77
	v_add_f16_e32 v6, v6, v14
	v_mul_f16_sdwa v65, v36, v47 dst_sel:DWORD dst_unused:UNUSED_PAD src0_sel:DWORD src1_sel:WORD_1
	v_mul_f16_sdwa v70, v54, v50 dst_sel:DWORD dst_unused:UNUSED_PAD src0_sel:DWORD src1_sel:WORD_1
	v_mul_f16_sdwa v71, v33, v50 dst_sel:DWORD dst_unused:UNUSED_PAD src0_sel:DWORD src1_sel:WORD_1
	v_mul_f16_sdwa v74, v56, v52 dst_sel:DWORD dst_unused:UNUSED_PAD src0_sel:DWORD src1_sel:WORD_1
	v_fma_f16 v41, v19, v15, -v59
	v_fma_f16 v28, v34, v49, v68
	v_fma_f16 v36, v56, v52, -v75
	v_fma_f16 v30, v30, v53, v76
	v_sub_f16_e32 v15, v45, v37
	v_add_f16_e32 v6, v6, v24
	v_mul_f16_sdwa v69, v34, v49 dst_sel:DWORD dst_unused:UNUSED_PAD src0_sel:DWORD src1_sel:WORD_1
	v_mul_f16_sdwa v72, v55, v51 dst_sel:DWORD dst_unused:UNUSED_PAD src0_sel:DWORD src1_sel:WORD_1
	;; [unrolled: 1-line block ×3, first 2 shown]
	v_fma_f16 v39, v21, v16, -v61
	v_fma_f16 v33, v33, v50, v70
	v_fma_f16 v34, v54, v50, -v71
	v_fma_f16 v31, v31, v52, v74
	v_add_f16_e32 v13, v44, v30
	v_mul_f16_e32 v16, 0xbbf1, v15
	v_add_f16_e32 v6, v6, v28
	v_sub_f16_e32 v50, v43, v36
	v_mul_f16_sdwa v67, v35, v48 dst_sel:DWORD dst_unused:UNUSED_PAD src0_sel:DWORD src1_sel:WORD_1
	v_fma_f16 v29, v29, v49, -v69
	v_fma_f16 v32, v32, v51, v72
	v_fma_f16 v35, v55, v51, -v73
	v_fma_f16 v21, v13, s4, v16
	v_fma_f16 v16, v13, s4, -v16
	v_add_f16_e32 v6, v6, v33
	v_add_f16_e32 v49, v42, v31
	v_mul_f16_e32 v51, 0xb3a8, v50
	v_mul_f16_e32 v18, 0xbb7b, v15
	v_add_f16_e32 v16, v20, v16
	v_add_f16_e32 v6, v6, v32
	v_fma_f16 v52, v49, s18, v51
	v_fma_f16 v51, v49, s18, -v51
	v_fma_f16 v27, v22, v46, -v63
	v_fma_f16 v22, v13, s5, v18
	v_add_f16_e32 v21, v20, v21
	v_add_f16_e32 v6, v6, v31
	v_fma_f16 v18, v13, s5, -v18
	v_add_f16_e32 v16, v51, v16
	v_mul_f16_e32 v51, 0x394e, v50
	v_fma_f16 v19, v23, v47, -v65
	v_add_f16_e32 v23, v6, v30
	v_add_f16_e32 v6, v20, v22
	;; [unrolled: 1-line block ×3, first 2 shown]
	v_mul_f16_e32 v22, 0xb94e, v15
	v_add_f16_e32 v21, v52, v21
	v_fma_f16 v52, v49, s30, v51
	v_fma_f16 v51, v49, s30, -v51
	v_fma_f16 v46, v13, s30, v22
	v_fma_f16 v22, v13, s30, -v22
	v_add_f16_e32 v18, v51, v18
	v_mul_f16_e32 v51, 0x3bf1, v50
	v_add_f16_e32 v22, v20, v22
	v_mul_f16_e32 v47, 0xb3a8, v15
	v_add_f16_e32 v6, v52, v6
	v_fma_f16 v52, v49, s4, v51
	v_fma_f16 v51, v49, s4, -v51
	v_fma_f16 v25, v25, v48, -v67
	v_add_f16_e32 v46, v20, v46
	v_fma_f16 v48, v13, s18, v47
	v_add_f16_e32 v22, v51, v22
	v_mul_f16_e32 v51, 0x3770, v50
	v_add_f16_e32 v48, v20, v48
	v_fma_f16 v47, v13, s18, -v47
	v_add_f16_e32 v46, v52, v46
	v_fma_f16 v52, v49, s19, v51
	v_add_f16_e32 v47, v20, v47
	v_add_f16_e32 v48, v52, v48
	v_fma_f16 v51, v49, s19, -v51
	v_sub_f16_e32 v52, v41, v35
	v_add_f16_e32 v47, v51, v47
	v_add_f16_e32 v51, v40, v32
	v_mul_f16_e32 v53, 0x3b7b, v52
	v_fma_f16 v54, v51, s5, v53
	v_fma_f16 v53, v51, s5, -v53
	v_add_f16_e32 v16, v53, v16
	v_mul_f16_e32 v53, 0x3770, v52
	v_add_f16_e32 v21, v54, v21
	v_fma_f16 v54, v51, s19, v53
	v_fma_f16 v53, v51, s19, -v53
	v_add_f16_e32 v18, v53, v18
	v_mul_f16_e32 v53, 0xba95, v52
	v_add_f16_e32 v6, v54, v6
	;; [unrolled: 5-line block ×3, first 2 shown]
	v_fma_f16 v54, v51, s30, v53
	v_add_f16_e32 v48, v54, v48
	v_fma_f16 v53, v51, s30, -v53
	v_sub_f16_e32 v54, v39, v34
	v_add_f16_e32 v47, v53, v47
	v_add_f16_e32 v53, v38, v33
	v_mul_f16_e32 v55, 0x3770, v54
	v_fma_f16 v56, v53, s19, v55
	v_fma_f16 v55, v53, s19, -v55
	v_add_f16_e32 v16, v55, v16
	v_mul_f16_e32 v55, 0xbbf1, v54
	v_add_f16_e32 v21, v56, v21
	v_fma_f16 v56, v53, s4, v55
	v_fma_f16 v55, v53, s4, -v55
	v_add_f16_e32 v18, v55, v18
	v_mul_f16_e32 v55, 0x33a8, v54
	v_add_f16_e32 v6, v56, v6
	;; [unrolled: 5-line block ×3, first 2 shown]
	v_fma_f16 v56, v53, s31, v55
	v_add_f16_e32 v48, v56, v48
	v_fma_f16 v55, v53, s31, -v55
	v_sub_f16_e32 v56, v27, v29
	v_add_f16_e32 v47, v55, v47
	v_add_f16_e32 v55, v26, v28
	v_mul_f16_e32 v57, 0xba95, v56
	v_fma_f16 v58, v55, s31, v57
	v_fma_f16 v57, v55, s31, -v57
	v_add_f16_e32 v16, v57, v16
	v_mul_f16_e32 v57, 0x33a8, v56
	v_add_f16_e32 v21, v58, v21
	v_fma_f16 v58, v55, s18, v57
	v_add_f16_e32 v58, v58, v6
	v_fma_f16 v6, v55, s18, -v57
	v_add_f16_e32 v18, v6, v18
	v_mul_f16_e32 v6, 0x3770, v56
	v_fma_f16 v57, v55, s19, v6
	v_fma_f16 v6, v55, s19, -v6
	v_add_f16_e32 v22, v6, v22
	v_mul_f16_e32 v6, 0xbb7b, v56
	v_add_f16_e32 v46, v57, v46
	v_fma_f16 v57, v55, s5, v6
	v_fma_f16 v6, v55, s5, -v6
	s_mov_b32 s18, 0xba95b770
	v_add_f16_e32 v47, v6, v47
	v_pk_mul_f16 v6, v15, s18 op_sel_hi:[0,1]
	s_mov_b32 s19, 0xbb7bba95
	v_pk_fma_f16 v15, v13, s20, v6 op_sel_hi:[0,1,1]
	v_pk_fma_f16 v6, v13, s20, v6 op_sel_hi:[0,1,1] neg_lo:[0,0,1] neg_hi:[0,0,1]
	v_pk_mul_f16 v13, v50, s19 op_sel_hi:[0,1]
	v_add_f16_e32 v60, v20, v15
	v_add_f16_sdwa v15, v20, v15 dst_sel:DWORD dst_unused:UNUSED_PAD src0_sel:DWORD src1_sel:WORD_1
	v_pk_add_f16 v6, v20, v6 op_sel_hi:[0,1]
	v_pk_fma_f16 v20, v49, s22, v13 op_sel_hi:[0,1,1]
	v_pk_fma_f16 v13, v49, s22, v13 op_sel_hi:[0,1,1] neg_lo:[0,0,1] neg_hi:[0,0,1]
	v_pk_add_f16 v6, v13, v6
	v_pk_mul_f16 v13, v52, s21 op_sel_hi:[0,1]
	v_add_f16_e32 v50, v20, v60
	v_add_f16_sdwa v15, v20, v15 dst_sel:DWORD dst_unused:UNUSED_PAD src0_sel:WORD_1 src1_sel:DWORD
	v_pk_fma_f16 v20, v51, s24, v13 op_sel_hi:[0,1,1]
	v_pk_fma_f16 v13, v51, s24, v13 op_sel_hi:[0,1,1] neg_lo:[0,0,1] neg_hi:[0,0,1]
	v_pk_add_f16 v6, v13, v6
	v_pk_mul_f16 v13, v54, s23 op_sel_hi:[0,1]
	v_add_f16_e32 v49, v20, v50
	v_add_f16_sdwa v15, v20, v15 dst_sel:DWORD dst_unused:UNUSED_PAD src0_sel:WORD_1 src1_sel:DWORD
	v_pk_fma_f16 v20, v53, s26, v13 op_sel_hi:[0,1,1]
	v_pk_fma_f16 v13, v53, s26, v13 op_sel_hi:[0,1,1] neg_lo:[0,0,1] neg_hi:[0,0,1]
	v_pk_add_f16 v6, v13, v6
	v_pk_mul_f16 v13, v56, s25 op_sel_hi:[0,1]
	v_sub_f16_e32 v59, v19, v25
	v_add_f16_e32 v49, v20, v49
	v_add_f16_sdwa v15, v20, v15 dst_sel:DWORD dst_unused:UNUSED_PAD src0_sel:WORD_1 src1_sel:DWORD
	v_pk_fma_f16 v20, v55, s27, v13 op_sel_hi:[0,1,1]
	v_pk_fma_f16 v13, v55, s27, v13 op_sel_hi:[0,1,1] neg_lo:[0,0,1] neg_hi:[0,0,1]
	v_add_f16_e32 v48, v57, v48
	v_add_f16_e32 v57, v14, v24
	v_pk_add_f16 v6, v13, v6
	v_pk_mul_f16 v13, v59, s28 op_sel_hi:[0,1]
	v_add_f16_e32 v49, v20, v49
	v_add_f16_sdwa v15, v20, v15 dst_sel:DWORD dst_unused:UNUSED_PAD src0_sel:WORD_1 src1_sel:DWORD
	v_pk_fma_f16 v20, v57, s29, v13 op_sel_hi:[0,1,1]
	v_pk_fma_f16 v13, v57, s29, v13 op_sel_hi:[0,1,1] neg_lo:[0,0,1] neg_hi:[0,0,1]
	v_pk_add_f16 v13, v13, v6
	v_mul_f16_e32 v6, 0xb94e, v59
	v_add_f16_e32 v49, v20, v49
	v_add_f16_sdwa v15, v20, v15 dst_sel:DWORD dst_unused:UNUSED_PAD src0_sel:WORD_1 src1_sel:DWORD
	v_fma_f16 v20, v57, s30, v6
	v_fma_f16 v6, v57, s30, -v6
	v_add_f16_e32 v6, v6, v16
	v_mul_f16_e32 v16, 0x3a95, v59
	v_add_f16_e32 v20, v20, v21
	v_fma_f16 v21, v57, s31, v16
	v_fma_f16 v16, v57, s31, -v16
	v_add_f16_e32 v16, v16, v18
	v_mul_f16_e32 v18, 0xbb7b, v59
	v_fma_f16 v50, v57, s5, v18
	v_fma_f16 v18, v57, s5, -v18
	v_add_f16_e32 v18, v18, v22
	v_mul_f16_e32 v22, 0x3bf1, v59
	v_add_f16_e32 v50, v50, v46
	v_fma_f16 v46, v57, s4, v22
	v_add_f16_e32 v48, v46, v48
	v_fma_f16 v22, v57, s4, -v22
	s_movk_i32 s4, 0x1ba
	v_mov_b32_e32 v46, 1
	v_mad_u32_u24 v3, v3, s4, 0
	v_lshlrev_b32_sdwa v17, v46, v17 dst_sel:DWORD dst_unused:UNUSED_PAD src0_sel:DWORD src1_sel:BYTE_0
	v_add_f16_e32 v21, v21, v58
	v_add_f16_e32 v22, v22, v47
	v_add3_u32 v46, v3, v17, v10
	ds_write_b16 v46, v23
	ds_write_b16 v46, v49 offset:34
	ds_write_b16 v46, v15 offset:68
	;; [unrolled: 1-line block ×10, first 2 shown]
	ds_write_b16_d16_hi v46, v13 offset:374
	ds_write_b16 v46, v13 offset:408
	s_waitcnt lgkmcnt(0)
	s_barrier
	ds_read_u16 v3, v1
	ds_read_u16 v20, v0 offset:1496
	ds_read_u16 v10, v0 offset:1326
	;; [unrolled: 1-line block ×9, first 2 shown]
	s_mov_b32 s30, 0xba95
	s_movk_i32 s31, 0x3a95
	s_and_saveexec_b64 s[4:5], vcc
	s_cbranch_execz .LBB0_16
; %bb.15:
	ds_read_u16 v2, v0 offset:1666
	ds_read_u16 v13, v0 offset:2108
	;; [unrolled: 1-line block ×5, first 2 shown]
	s_mov_b32 s34, 0x5040100
	s_waitcnt lgkmcnt(3)
	v_perm_b32 v2, v13, v2, s34
	s_waitcnt lgkmcnt(1)
	v_perm_b32 v13, v47, v48, s34
.LBB0_16:
	s_or_b64 exec, exec, s[4:5]
	v_add_f16_e32 v47, v4, v45
	v_add_f16_e32 v47, v47, v43
	;; [unrolled: 1-line block ×13, first 2 shown]
	v_sub_f16_e32 v30, v44, v30
	v_mul_f16_e32 v44, 0x2fb7, v37
	v_add_f16_e32 v36, v43, v36
	v_fma_f16 v45, v30, s11, v44
	v_fma_f16 v44, v30, s6, v44
	v_sub_f16_e32 v31, v42, v31
	v_mul_f16_e32 v42, 0xbbc4, v36
	v_add_f16_e32 v44, v4, v44
	v_mul_f16_e32 v48, 0xb5ac, v37
	v_mul_f16_e32 v50, 0xb9fd, v37
	;; [unrolled: 1-line block ×3, first 2 shown]
	v_fma_f16 v43, v31, s33, v42
	v_fma_f16 v42, v31, s16, v42
	v_add_f16_e32 v35, v41, v35
	v_sub_f16_e32 v24, v14, v24
	v_pk_mul_f16 v14, v37, s20 op_sel_hi:[0,1]
	v_add_f16_e32 v45, v4, v45
	v_fma_f16 v49, v30, s13, v48
	v_fma_f16 v48, v30, s7, v48
	;; [unrolled: 1-line block ×6, first 2 shown]
	v_add_f16_e32 v42, v42, v44
	v_mul_f16_e32 v44, 0xb9fd, v36
	v_sub_f16_e32 v32, v40, v32
	v_mul_f16_e32 v40, 0xb5ac, v35
	v_add_f16_e32 v34, v39, v34
	v_add_f16_e32 v25, v19, v25
	v_pk_fma_f16 v19, v30, s18, v14 op_sel_hi:[0,1,1] neg_lo:[1,0,0] neg_hi:[1,0,0]
	v_pk_fma_f16 v14, v30, s18, v14 op_sel_hi:[0,1,1]
	v_add_f16_e32 v49, v4, v49
	v_add_f16_e32 v48, v4, v48
	;; [unrolled: 1-line block ×7, first 2 shown]
	v_fma_f16 v45, v31, s10, v44
	v_fma_f16 v44, v31, s12, v44
	s_mov_b32 s4, 0xb770
	v_fma_f16 v41, v32, s7, v40
	v_fma_f16 v40, v32, s13, v40
	v_sub_f16_e32 v33, v38, v33
	v_mul_f16_e32 v38, 0x3b15, v34
	v_add_f16_e32 v27, v27, v29
	v_add_f16_e32 v37, v4, v19
	v_add_f16_sdwa v19, v4, v19 dst_sel:DWORD dst_unused:UNUSED_PAD src0_sel:DWORD src1_sel:WORD_1
	v_pk_add_f16 v4, v4, v14 op_sel_hi:[0,1]
	v_pk_mul_f16 v14, v36, s22 op_sel_hi:[0,1]
	v_add_f16_e32 v44, v44, v48
	v_mul_f16_e32 v48, 0x2fb7, v36
	v_add_f16_e32 v40, v40, v42
	v_mul_f16_e32 v42, 0x3b15, v35
	v_fma_f16 v39, v33, s4, v38
	v_fma_f16 v38, v33, s17, v38
	v_sub_f16_e32 v26, v26, v28
	v_mul_f16_e32 v28, 0x388b, v27
	v_pk_fma_f16 v30, v31, s19, v14 op_sel_hi:[0,1,1] neg_lo:[1,0,0] neg_hi:[1,0,0]
	v_pk_fma_f16 v14, v31, s19, v14 op_sel_hi:[0,1,1]
	v_add_f16_e32 v45, v45, v49
	v_fma_f16 v49, v31, s6, v48
	v_fma_f16 v48, v31, s11, v48
	v_add_f16_e32 v41, v41, v43
	v_fma_f16 v43, v32, s4, v42
	v_fma_f16 v42, v32, s17, v42
	v_add_f16_e32 v38, v38, v40
	v_mul_f16_e32 v40, 0x2fb7, v34
	v_fma_f16 v29, v26, s31, v28
	v_fma_f16 v28, v26, s30, v28
	v_pk_add_f16 v4, v14, v4
	v_pk_mul_f16 v14, v35, s24 op_sel_hi:[0,1]
	v_add_f16_e32 v48, v48, v50
	v_mul_f16_e32 v50, 0x3b15, v36
	v_add_f16_e32 v42, v42, v44
	v_mul_f16_e32 v44, 0x388b, v35
	v_add_f16_e32 v39, v39, v41
	v_fma_f16 v41, v33, s11, v40
	v_fma_f16 v40, v33, s6, v40
	v_add_f16_e32 v28, v28, v38
	v_mul_f16_e32 v38, 0xbbc4, v27
	v_add_f16_e32 v36, v30, v37
	v_add_f16_sdwa v19, v30, v19 dst_sel:DWORD dst_unused:UNUSED_PAD src0_sel:WORD_1 src1_sel:DWORD
	v_pk_fma_f16 v30, v32, s21, v14 op_sel_hi:[0,1,1] neg_lo:[1,0,0] neg_hi:[1,0,0]
	v_pk_fma_f16 v14, v32, s21, v14 op_sel_hi:[0,1,1]
	v_add_f16_e32 v43, v43, v45
	v_fma_f16 v45, v32, s31, v44
	v_fma_f16 v44, v32, s30, v44
	v_add_f16_e32 v40, v40, v42
	v_mul_f16_e32 v42, 0xbbc4, v34
	v_add_f16_e32 v29, v29, v39
	v_fma_f16 v39, v26, s16, v38
	v_fma_f16 v38, v26, s33, v38
	v_pk_add_f16 v4, v14, v4
	v_pk_mul_f16 v14, v34, s26 op_sel_hi:[0,1]
	v_add_f16_e32 v49, v49, v51
	v_fma_f16 v51, v31, s4, v50
	v_fma_f16 v50, v31, s17, v50
	v_add_f16_e32 v44, v44, v48
	v_add_f16_e32 v41, v41, v43
	v_fma_f16 v43, v33, s16, v42
	v_fma_f16 v42, v33, s33, v42
	v_add_f16_e32 v38, v38, v40
	v_mul_f16_e32 v40, 0x3b15, v27
	v_add_f16_e32 v31, v30, v36
	v_add_f16_sdwa v19, v30, v19 dst_sel:DWORD dst_unused:UNUSED_PAD src0_sel:WORD_1 src1_sel:DWORD
	v_pk_fma_f16 v30, v33, s23, v14 op_sel_hi:[0,1,1] neg_lo:[1,0,0] neg_hi:[1,0,0]
	v_pk_fma_f16 v14, v33, s23, v14 op_sel_hi:[0,1,1]
	v_add_f16_e32 v42, v42, v44
	v_add_f16_e32 v39, v39, v41
	v_fma_f16 v41, v26, s4, v40
	v_fma_f16 v40, v26, s17, v40
	v_pk_add_f16 v4, v14, v4
	v_pk_mul_f16 v14, v27, s27 op_sel_hi:[0,1]
	v_add_f16_e32 v45, v45, v49
	v_add_f16_e32 v40, v40, v42
	v_mul_f16_e32 v42, 0xb5ac, v27
	v_pk_fma_f16 v27, v26, s25, v14 op_sel_hi:[0,1,1] neg_lo:[1,0,0] neg_hi:[1,0,0]
	v_pk_fma_f16 v14, v26, s25, v14 op_sel_hi:[0,1,1]
	v_add_f16_e32 v43, v43, v45
	v_add_f16_e32 v31, v30, v31
	v_add_f16_sdwa v19, v30, v19 dst_sel:DWORD dst_unused:UNUSED_PAD src0_sel:WORD_1 src1_sel:DWORD
	v_pk_add_f16 v4, v14, v4
	v_pk_mul_f16 v14, v25, s29 op_sel_hi:[0,1]
	v_mul_f16_e32 v48, 0xb9fd, v35
	v_add_f16_e32 v41, v41, v43
	v_fma_f16 v43, v26, s13, v42
	v_fma_f16 v42, v26, s7, v42
	v_add_f16_e32 v30, v27, v31
	v_add_f16_sdwa v19, v27, v19 dst_sel:DWORD dst_unused:UNUSED_PAD src0_sel:WORD_1 src1_sel:DWORD
	v_pk_fma_f16 v26, v24, s28, v14 op_sel_hi:[0,1,1] neg_lo:[1,0,0] neg_hi:[1,0,0]
	v_pk_fma_f16 v14, v24, s28, v14 op_sel_hi:[0,1,1]
	v_add_f16_e32 v50, v50, v52
	v_fma_f16 v49, v32, s12, v48
	v_fma_f16 v48, v32, s10, v48
	v_mul_f16_e32 v44, 0x388b, v34
	v_add_f16_e32 v27, v26, v30
	v_add_f16_sdwa v26, v26, v19 dst_sel:DWORD dst_unused:UNUSED_PAD src0_sel:WORD_1 src1_sel:DWORD
	v_pk_add_f16 v19, v14, v4
	v_mul_f16_e32 v4, 0xb9fd, v25
	v_add_f16_e32 v51, v51, v53
	v_add_f16_e32 v48, v48, v50
	v_fma_f16 v45, v33, s30, v44
	v_fma_f16 v44, v33, s31, v44
	;; [unrolled: 1-line block ×4, first 2 shown]
	v_add_f16_e32 v49, v49, v51
	v_add_f16_e32 v44, v44, v48
	;; [unrolled: 1-line block ×4, first 2 shown]
	v_mul_f16_e32 v4, 0x388b, v25
	v_mul_f16_e32 v30, 0xb5ac, v25
	;; [unrolled: 1-line block ×3, first 2 shown]
	v_add_f16_e32 v45, v45, v49
	v_add_f16_e32 v42, v42, v44
	v_fma_f16 v28, v24, s30, v4
	v_fma_f16 v4, v24, s31, v4
	;; [unrolled: 1-line block ×6, first 2 shown]
	v_add_f16_e32 v43, v43, v45
	v_add_f16_e32 v24, v24, v42
	;; [unrolled: 1-line block ×7, first 2 shown]
	s_waitcnt lgkmcnt(0)
	s_barrier
	ds_write_b16 v46, v47
	ds_write_b16 v46, v27 offset:34
	ds_write_b16 v46, v26 offset:68
	;; [unrolled: 1-line block ×10, first 2 shown]
	v_lshrrev_b32_e32 v24, 16, v19
	ds_write_b16 v46, v24 offset:374
	ds_write_b16 v46, v19 offset:408
	s_waitcnt lgkmcnt(0)
	s_barrier
	ds_read_u16 v4, v1
	ds_read_u16 v30, v0 offset:1496
	ds_read_u16 v25, v0 offset:1326
	;; [unrolled: 1-line block ×9, first 2 shown]
	s_and_saveexec_b64 s[4:5], vcc
	s_cbranch_execz .LBB0_18
; %bb.17:
	ds_read_u16 v1, v0 offset:1666
	ds_read_u16 v5, v0 offset:2108
	;; [unrolled: 1-line block ×5, first 2 shown]
	s_mov_b32 s6, 0x5040100
	s_waitcnt lgkmcnt(3)
	v_perm_b32 v5, v5, v1, s6
.LBB0_18:
	s_or_b64 exec, exec, s[4:5]
	s_and_saveexec_b64 s[4:5], s[0:1]
	s_cbranch_execz .LBB0_21
; %bb.19:
	v_add_u32_e32 v42, 0x55, v9
	v_lshlrev_b32_e32 v0, 2, v42
	v_mov_b32_e32 v1, 0
	v_lshlrev_b64 v[34:35], 2, v[0:1]
	v_mov_b32_e32 v40, s9
	v_add_co_u32_e64 v34, s[0:1], s8, v34
	v_addc_co_u32_e64 v35, s[0:1], v40, v35, s[0:1]
	global_load_dwordx4 v[34:37], v[34:35], off offset:816
	v_lshlrev_b32_e32 v0, 2, v9
	v_lshlrev_b64 v[38:39], 2, v[0:1]
	v_mul_lo_u32 v43, s3, v11
	v_add_co_u32_e64 v38, s[0:1], s8, v38
	v_addc_co_u32_e64 v39, s[0:1], v40, v39, s[0:1]
	global_load_dwordx4 v[38:41], v[38:39], off offset:816
	v_mul_lo_u32 v44, s2, v12
	v_mad_u64_u32 v[11:12], s[0:1], s2, v11, 0
	s_mov_b32 s6, 0xbb9c
	s_mov_b32 s3, 0xb8b4
	v_add3_u32 v12, v12, v44, v43
	s_movk_i32 s5, 0x3b9c
	s_movk_i32 s2, 0x34f2
	;; [unrolled: 1-line block ×3, first 2 shown]
	s_waitcnt vmcnt(1)
	v_mul_f16_sdwa v0, v22, v35 dst_sel:DWORD dst_unused:UNUSED_PAD src0_sel:DWORD src1_sel:WORD_1
	v_mul_f16_sdwa v43, v21, v34 dst_sel:DWORD dst_unused:UNUSED_PAD src0_sel:DWORD src1_sel:WORD_1
	;; [unrolled: 1-line block ×4, first 2 shown]
	s_waitcnt lgkmcnt(6)
	v_mul_f16_sdwa v46, v31, v35 dst_sel:DWORD dst_unused:UNUSED_PAD src0_sel:DWORD src1_sel:WORD_1
	v_mul_f16_sdwa v47, v30, v36 dst_sel:DWORD dst_unused:UNUSED_PAD src0_sel:DWORD src1_sel:WORD_1
	s_waitcnt lgkmcnt(4)
	v_mul_f16_sdwa v48, v32, v34 dst_sel:DWORD dst_unused:UNUSED_PAD src0_sel:DWORD src1_sel:WORD_1
	v_fma_f16 v0, v31, v35, -v0
	v_fma_f16 v31, v32, v34, -v43
	s_waitcnt lgkmcnt(0)
	v_fma_f16 v32, v33, v37, -v45
	v_mul_f16_sdwa v49, v33, v37 dst_sel:DWORD dst_unused:UNUSED_PAD src0_sel:DWORD src1_sel:WORD_1
	v_fma_f16 v30, v30, v36, -v44
	v_fma_f16 v20, v20, v36, v47
	v_fma_f16 v21, v21, v34, v48
	v_sub_f16_e32 v33, v0, v31
	v_add_f16_e32 v36, v31, v32
	v_sub_f16_e32 v45, v31, v32
	v_sub_f16_e32 v48, v31, v0
	v_add_f16_e32 v31, v29, v31
	v_fma_f16 v22, v22, v35, v46
	v_fma_f16 v23, v23, v37, v49
	v_sub_f16_e32 v34, v30, v32
	v_sub_f16_e32 v47, v0, v30
	v_add_f16_e32 v50, v0, v30
	v_add_f16_e32 v0, v0, v31
	v_sub_f16_e32 v37, v21, v23
	v_sub_f16_e32 v43, v22, v21
	v_add_f16_e32 v46, v21, v23
	v_sub_f16_e32 v51, v21, v22
	v_add_f16_e32 v21, v18, v21
	v_add_f16_e32 v33, v33, v34
	v_fma_f16 v34, v36, -0.5, v29
	v_fma_f16 v29, v50, -0.5, v29
	v_add_f16_e32 v0, v30, v0
	v_sub_f16_e32 v35, v22, v20
	v_sub_f16_e32 v44, v20, v23
	;; [unrolled: 1-line block ×3, first 2 shown]
	v_add_f16_e32 v53, v22, v20
	v_add_f16_e32 v21, v22, v21
	;; [unrolled: 1-line block ×3, first 2 shown]
	v_fma_f16 v0, v37, s6, v29
	v_sub_f16_e32 v52, v23, v20
	v_add_f16_e32 v36, v43, v44
	v_fma_f16 v43, v46, -0.5, v18
	v_add_f16_e32 v44, v48, v49
	v_fma_f16 v18, v53, -0.5, v18
	v_add_f16_e32 v20, v21, v20
	v_fma_f16 v0, v35, s3, v0
	v_fma_f16 v22, v35, s5, v34
	;; [unrolled: 1-line block ×4, first 2 shown]
	v_add_f16_e32 v20, v20, v23
	v_fma_f16 v23, v44, s2, v0
	v_fma_f16 v0, v45, s5, v18
	v_add_f16_e32 v46, v51, v52
	v_fma_f16 v34, v35, s6, v34
	v_fma_f16 v21, v37, s3, v22
	;; [unrolled: 1-line block ×11, first 2 shown]
	s_waitcnt vmcnt(0)
	v_mul_f16_sdwa v0, v16, v38 dst_sel:DWORD dst_unused:UNUSED_PAD src0_sel:DWORD src1_sel:WORD_1
	v_mul_f16_sdwa v29, v15, v39 dst_sel:DWORD dst_unused:UNUSED_PAD src0_sel:DWORD src1_sel:WORD_1
	;; [unrolled: 1-line block ×4, first 2 shown]
	v_fma_f16 v34, v35, s4, v48
	v_fma_f16 v43, v47, s3, v49
	v_fma_f16 v0, v27, v38, -v0
	v_fma_f16 v29, v26, v39, -v29
	;; [unrolled: 1-line block ×4, first 2 shown]
	v_mul_f16_sdwa v27, v27, v38 dst_sel:DWORD dst_unused:UNUSED_PAD src0_sel:DWORD src1_sel:WORD_1
	v_fma_f16 v21, v33, s2, v21
	v_fma_f16 v30, v33, s2, v30
	;; [unrolled: 1-line block ×4, first 2 shown]
	v_sub_f16_e32 v35, v0, v29
	v_sub_f16_e32 v43, v36, v37
	v_fma_f16 v16, v16, v38, v27
	v_mul_f16_sdwa v27, v28, v41 dst_sel:DWORD dst_unused:UNUSED_PAD src0_sel:DWORD src1_sel:WORD_1
	v_add_f16_e32 v35, v35, v43
	v_add_f16_e32 v43, v29, v37
	v_fma_f16 v17, v17, v41, v27
	v_mul_f16_sdwa v26, v26, v39 dst_sel:DWORD dst_unused:UNUSED_PAD src0_sel:DWORD src1_sel:WORD_1
	v_mul_f16_sdwa v25, v25, v40 dst_sel:DWORD dst_unused:UNUSED_PAD src0_sel:DWORD src1_sel:WORD_1
	v_fma_f16 v43, v43, -0.5, v4
	v_sub_f16_e32 v27, v16, v17
	v_fma_f16 v15, v15, v39, v26
	v_fma_f16 v10, v10, v40, v25
	;; [unrolled: 1-line block ×3, first 2 shown]
	v_sub_f16_e32 v25, v15, v10
	v_fma_f16 v26, v25, s3, v28
	v_sub_f16_e32 v28, v16, v15
	v_sub_f16_e32 v38, v17, v10
	;; [unrolled: 1-line block ×4, first 2 shown]
	v_add_f16_e32 v28, v28, v38
	v_add_f16_e32 v38, v15, v10
	;; [unrolled: 1-line block ×4, first 2 shown]
	v_fma_f16 v38, v38, -0.5, v3
	v_fma_f16 v48, v48, -0.5, v3
	v_add_f16_e32 v3, v3, v16
	v_sub_f16_e32 v44, v29, v0
	v_sub_f16_e32 v45, v37, v36
	v_add_f16_e32 v3, v3, v15
	v_add_f16_e32 v44, v44, v45
	;; [unrolled: 1-line block ×4, first 2 shown]
	v_sub_f16_e32 v39, v0, v36
	v_fma_f16 v45, v45, -0.5, v4
	v_add_f16_e32 v0, v4, v0
	v_add_f16_e32 v15, v17, v3
	v_lshlrev_b64 v[3:4], 2, v[11:12]
	v_mov_b32_e32 v11, s15
	v_add_co_u32_e64 v12, s[0:1], s14, v3
	v_addc_co_u32_e64 v11, s[0:1], v11, v4, s[0:1]
	v_lshlrev_b64 v[3:4], 2, v[7:8]
	v_mov_b32_e32 v10, v1
	v_add_co_u32_e64 v7, s[0:1], v12, v3
	v_fma_f16 v46, v25, s5, v45
	v_fma_f16 v45, v25, s6, v45
	v_addc_co_u32_e64 v8, s[0:1], v11, v4, s[0:1]
	v_lshlrev_b64 v[3:4], 2, v[9:10]
	v_fma_f16 v46, v27, s3, v46
	v_fma_f16 v45, v27, s4, v45
	;; [unrolled: 1-line block ×3, first 2 shown]
	v_add_f16_e32 v0, v0, v29
	v_sub_f16_e32 v41, v29, v37
	v_fma_f16 v25, v25, s4, v27
	v_fma_f16 v27, v39, s6, v38
	v_add_f16_e32 v0, v0, v37
	v_add_co_u32_e64 v3, s[0:1], v7, v3
	v_fma_f16 v46, v44, s2, v46
	v_fma_f16 v44, v44, s2, v45
	;; [unrolled: 1-line block ×4, first 2 shown]
	v_add_f16_e32 v0, v36, v0
	v_addc_co_u32_e64 v4, s[0:1], v8, v4, s[0:1]
	v_fma_f16 v49, v41, s6, v48
	v_fma_f16 v45, v39, s3, v45
	;; [unrolled: 1-line block ×4, first 2 shown]
	v_pack_b32_f16 v0, v15, v0
	s_mov_b32 s0, 0x288b0129
	v_fma_f16 v40, v39, s5, v38
	v_fma_f16 v49, v39, s4, v49
	;; [unrolled: 1-line block ×3, first 2 shown]
	global_store_dword v[3:4], v0, off
	v_pack_b32_f16 v0, v27, v25
	v_mul_hi_u32 v7, v42, s0
	v_fma_f16 v40, v41, s4, v40
	v_fma_f16 v49, v47, s2, v49
	global_store_dword v[3:4], v0, off offset:884
	v_pack_b32_f16 v0, v45, v44
	v_fma_f16 v26, v35, s2, v26
	v_fma_f16 v40, v28, s2, v40
	global_store_dword v[3:4], v0, off offset:1768
	v_pack_b32_f16 v0, v49, v46
	global_store_dword v[3:4], v0, off offset:2652
	v_pack_b32_f16 v0, v40, v26
	global_store_dword v[3:4], v0, off offset:3536
	v_sub_u32_e32 v0, v42, v7
	v_lshrrev_b32_e32 v0, 1, v0
	v_add_u32_e32 v0, v0, v7
	v_lshrrev_b32_e32 v0, 7, v0
	v_mul_u32_u24_e32 v0, 0x374, v0
	v_lshlrev_b64 v[7:8], 2, v[0:1]
	v_pack_b32_f16 v0, v20, v32
	v_add_co_u32_e64 v7, s[0:1], v3, v7
	v_addc_co_u32_e64 v8, s[0:1], v4, v8, s[0:1]
	global_store_dword v[7:8], v0, off offset:340
	v_pack_b32_f16 v0, v34, v33
	global_store_dword v[7:8], v0, off offset:1224
	v_pack_b32_f16 v0, v31, v30
	;; [unrolled: 2-line block ×4, first 2 shown]
	global_store_dword v[7:8], v0, off offset:3876
	s_and_b64 exec, exec, vcc
	s_cbranch_execz .LBB0_21
; %bb.20:
	v_not_b32_e32 v0, 50
	v_mov_b32_e32 v7, 0xaa
	v_cndmask_b32_e32 v0, v0, v7, vcc
	v_add_lshl_u32 v0, v9, v0, 2
	v_lshlrev_b64 v[0:1], 2, v[0:1]
	v_mov_b32_e32 v7, s9
	v_add_co_u32_e32 v0, vcc, s8, v0
	v_addc_co_u32_e32 v1, vcc, v7, v1, vcc
	global_load_dwordx4 v[7:10], v[0:1], off offset:816
	v_lshrrev_b32_e32 v0, 16, v13
	v_lshrrev_b32_e32 v1, 16, v2
	;; [unrolled: 1-line block ×3, first 2 shown]
	s_waitcnt vmcnt(0)
	v_mul_f16_sdwa v12, v24, v7 dst_sel:DWORD dst_unused:UNUSED_PAD src0_sel:DWORD src1_sel:WORD_1
	v_mul_f16_sdwa v15, v0, v7 dst_sel:DWORD dst_unused:UNUSED_PAD src0_sel:DWORD src1_sel:WORD_1
	v_mul_f16_sdwa v16, v19, v8 dst_sel:DWORD dst_unused:UNUSED_PAD src0_sel:DWORD src1_sel:WORD_1
	v_mul_f16_sdwa v17, v13, v8 dst_sel:DWORD dst_unused:UNUSED_PAD src0_sel:DWORD src1_sel:WORD_1
	v_mul_f16_sdwa v18, v5, v9 dst_sel:DWORD dst_unused:UNUSED_PAD src0_sel:DWORD src1_sel:WORD_1
	v_mul_f16_sdwa v20, v2, v9 dst_sel:DWORD dst_unused:UNUSED_PAD src0_sel:DWORD src1_sel:WORD_1
	v_mul_f16_sdwa v21, v11, v10 dst_sel:DWORD dst_unused:UNUSED_PAD src0_sel:DWORD src1_sel:WORD_1
	v_mul_f16_sdwa v22, v1, v10 dst_sel:DWORD dst_unused:UNUSED_PAD src0_sel:DWORD src1_sel:WORD_1
	v_fma_f16 v0, v0, v7, v12
	v_fma_f16 v7, v24, v7, -v15
	v_fma_f16 v12, v13, v8, v16
	v_fma_f16 v8, v19, v8, -v17
	;; [unrolled: 2-line block ×4, first 2 shown]
	v_add_f16_e32 v10, v6, v0
	v_add_f16_e32 v11, v12, v2
	v_sub_f16_e32 v16, v0, v12
	v_sub_f16_e32 v17, v1, v2
	v_add_f16_e32 v18, v0, v1
	v_add_f16_e32 v21, v14, v7
	;; [unrolled: 1-line block ×4, first 2 shown]
	v_sub_f16_e32 v13, v7, v9
	v_sub_f16_e32 v15, v8, v5
	;; [unrolled: 1-line block ×8, first 2 shown]
	v_add_f16_e32 v10, v10, v12
	v_fma_f16 v11, v11, -0.5, v6
	v_add_f16_e32 v12, v16, v17
	v_fma_f16 v6, v18, -0.5, v6
	;; [unrolled: 2-line block ×3, first 2 shown]
	v_fma_f16 v14, v26, -0.5, v14
	v_sub_f16_e32 v25, v9, v5
	v_sub_f16_e32 v27, v5, v9
	v_add_f16_e32 v16, v19, v20
	v_add_f16_e32 v2, v10, v2
	v_fma_f16 v10, v13, s6, v11
	v_fma_f16 v11, v13, s5, v11
	;; [unrolled: 1-line block ×4, first 2 shown]
	v_add_f16_e32 v5, v8, v5
	v_fma_f16 v8, v0, s5, v17
	v_fma_f16 v20, v23, s6, v14
	;; [unrolled: 1-line block ×3, first 2 shown]
	v_add_f16_e32 v18, v24, v25
	v_add_f16_e32 v7, v7, v27
	v_fma_f16 v17, v0, s6, v17
	v_add_f16_e32 v1, v2, v1
	v_fma_f16 v2, v15, s3, v10
	v_fma_f16 v10, v15, s4, v11
	;; [unrolled: 1-line block ×4, first 2 shown]
	v_add_f16_e32 v5, v5, v9
	v_fma_f16 v8, v23, s4, v8
	v_fma_f16 v13, v0, s4, v20
	;; [unrolled: 1-line block ×7, first 2 shown]
	v_pack_b32_f16 v1, v1, v5
	v_fma_f16 v9, v23, s3, v17
	v_fma_f16 v10, v12, s2, v10
	;; [unrolled: 1-line block ×4, first 2 shown]
	global_store_dword v[3:4], v1, off offset:680
	v_pack_b32_f16 v1, v2, v8
	v_pack_b32_f16 v0, v6, v0
	v_fma_f16 v9, v18, s2, v9
	v_pack_b32_f16 v2, v11, v12
	global_store_dword v[3:4], v1, off offset:1564
	global_store_dword v[3:4], v2, off offset:2448
	;; [unrolled: 1-line block ×3, first 2 shown]
	v_add_co_u32_e32 v0, vcc, 0x1000, v3
	v_pack_b32_f16 v5, v10, v9
	v_addc_co_u32_e32 v1, vcc, 0, v4, vcc
	global_store_dword v[0:1], v5, off offset:120
.LBB0_21:
	s_endpgm
	.section	.rodata,"a",@progbits
	.p2align	6, 0x0
	.amdhsa_kernel fft_rtc_back_len1105_factors_17_13_5_wgs_255_tpt_85_halfLds_half_op_CI_CI_unitstride_sbrr_dirReg
		.amdhsa_group_segment_fixed_size 0
		.amdhsa_private_segment_fixed_size 0
		.amdhsa_kernarg_size 104
		.amdhsa_user_sgpr_count 6
		.amdhsa_user_sgpr_private_segment_buffer 1
		.amdhsa_user_sgpr_dispatch_ptr 0
		.amdhsa_user_sgpr_queue_ptr 0
		.amdhsa_user_sgpr_kernarg_segment_ptr 1
		.amdhsa_user_sgpr_dispatch_id 0
		.amdhsa_user_sgpr_flat_scratch_init 0
		.amdhsa_user_sgpr_private_segment_size 0
		.amdhsa_uses_dynamic_stack 0
		.amdhsa_system_sgpr_private_segment_wavefront_offset 0
		.amdhsa_system_sgpr_workgroup_id_x 1
		.amdhsa_system_sgpr_workgroup_id_y 0
		.amdhsa_system_sgpr_workgroup_id_z 0
		.amdhsa_system_sgpr_workgroup_info 0
		.amdhsa_system_vgpr_workitem_id 0
		.amdhsa_next_free_vgpr 92
		.amdhsa_next_free_sgpr 55
		.amdhsa_reserve_vcc 1
		.amdhsa_reserve_flat_scratch 0
		.amdhsa_float_round_mode_32 0
		.amdhsa_float_round_mode_16_64 0
		.amdhsa_float_denorm_mode_32 3
		.amdhsa_float_denorm_mode_16_64 3
		.amdhsa_dx10_clamp 1
		.amdhsa_ieee_mode 1
		.amdhsa_fp16_overflow 0
		.amdhsa_exception_fp_ieee_invalid_op 0
		.amdhsa_exception_fp_denorm_src 0
		.amdhsa_exception_fp_ieee_div_zero 0
		.amdhsa_exception_fp_ieee_overflow 0
		.amdhsa_exception_fp_ieee_underflow 0
		.amdhsa_exception_fp_ieee_inexact 0
		.amdhsa_exception_int_div_zero 0
	.end_amdhsa_kernel
	.text
.Lfunc_end0:
	.size	fft_rtc_back_len1105_factors_17_13_5_wgs_255_tpt_85_halfLds_half_op_CI_CI_unitstride_sbrr_dirReg, .Lfunc_end0-fft_rtc_back_len1105_factors_17_13_5_wgs_255_tpt_85_halfLds_half_op_CI_CI_unitstride_sbrr_dirReg
                                        ; -- End function
	.section	.AMDGPU.csdata,"",@progbits
; Kernel info:
; codeLenInByte = 11716
; NumSgprs: 59
; NumVgprs: 92
; ScratchSize: 0
; MemoryBound: 0
; FloatMode: 240
; IeeeMode: 1
; LDSByteSize: 0 bytes/workgroup (compile time only)
; SGPRBlocks: 7
; VGPRBlocks: 22
; NumSGPRsForWavesPerEU: 59
; NumVGPRsForWavesPerEU: 92
; Occupancy: 2
; WaveLimiterHint : 1
; COMPUTE_PGM_RSRC2:SCRATCH_EN: 0
; COMPUTE_PGM_RSRC2:USER_SGPR: 6
; COMPUTE_PGM_RSRC2:TRAP_HANDLER: 0
; COMPUTE_PGM_RSRC2:TGID_X_EN: 1
; COMPUTE_PGM_RSRC2:TGID_Y_EN: 0
; COMPUTE_PGM_RSRC2:TGID_Z_EN: 0
; COMPUTE_PGM_RSRC2:TIDIG_COMP_CNT: 0
	.type	__hip_cuid_6428e98ccbdc428a,@object ; @__hip_cuid_6428e98ccbdc428a
	.section	.bss,"aw",@nobits
	.globl	__hip_cuid_6428e98ccbdc428a
__hip_cuid_6428e98ccbdc428a:
	.byte	0                               ; 0x0
	.size	__hip_cuid_6428e98ccbdc428a, 1

	.ident	"AMD clang version 19.0.0git (https://github.com/RadeonOpenCompute/llvm-project roc-6.4.0 25133 c7fe45cf4b819c5991fe208aaa96edf142730f1d)"
	.section	".note.GNU-stack","",@progbits
	.addrsig
	.addrsig_sym __hip_cuid_6428e98ccbdc428a
	.amdgpu_metadata
---
amdhsa.kernels:
  - .args:
      - .actual_access:  read_only
        .address_space:  global
        .offset:         0
        .size:           8
        .value_kind:     global_buffer
      - .offset:         8
        .size:           8
        .value_kind:     by_value
      - .actual_access:  read_only
        .address_space:  global
        .offset:         16
        .size:           8
        .value_kind:     global_buffer
      - .actual_access:  read_only
        .address_space:  global
        .offset:         24
        .size:           8
        .value_kind:     global_buffer
      - .actual_access:  read_only
        .address_space:  global
        .offset:         32
        .size:           8
        .value_kind:     global_buffer
      - .offset:         40
        .size:           8
        .value_kind:     by_value
      - .actual_access:  read_only
        .address_space:  global
        .offset:         48
        .size:           8
        .value_kind:     global_buffer
      - .actual_access:  read_only
        .address_space:  global
        .offset:         56
        .size:           8
        .value_kind:     global_buffer
      - .offset:         64
        .size:           4
        .value_kind:     by_value
      - .actual_access:  read_only
        .address_space:  global
        .offset:         72
        .size:           8
        .value_kind:     global_buffer
      - .actual_access:  read_only
        .address_space:  global
        .offset:         80
        .size:           8
        .value_kind:     global_buffer
      - .actual_access:  read_only
        .address_space:  global
        .offset:         88
        .size:           8
        .value_kind:     global_buffer
      - .actual_access:  write_only
        .address_space:  global
        .offset:         96
        .size:           8
        .value_kind:     global_buffer
    .group_segment_fixed_size: 0
    .kernarg_segment_align: 8
    .kernarg_segment_size: 104
    .language:       OpenCL C
    .language_version:
      - 2
      - 0
    .max_flat_workgroup_size: 255
    .name:           fft_rtc_back_len1105_factors_17_13_5_wgs_255_tpt_85_halfLds_half_op_CI_CI_unitstride_sbrr_dirReg
    .private_segment_fixed_size: 0
    .sgpr_count:     59
    .sgpr_spill_count: 0
    .symbol:         fft_rtc_back_len1105_factors_17_13_5_wgs_255_tpt_85_halfLds_half_op_CI_CI_unitstride_sbrr_dirReg.kd
    .uniform_work_group_size: 1
    .uses_dynamic_stack: false
    .vgpr_count:     92
    .vgpr_spill_count: 0
    .wavefront_size: 64
amdhsa.target:   amdgcn-amd-amdhsa--gfx906
amdhsa.version:
  - 1
  - 2
...

	.end_amdgpu_metadata
